;; amdgpu-corpus repo=triton-lang/triton kind=triton arch=gfx1201 opt=O3 lang=triton
	.amdgcn_target "amdgcn-amd-amdhsa--gfx1201"
	.amdhsa_code_object_version 5
	.text
	.globl	indirect_matmul_kernel          ; -- Begin function indirect_matmul_kernel
	.p2align	8
	.type	indirect_matmul_kernel,@function
indirect_matmul_kernel:                 ; @indirect_matmul_kernel
.Lfunc_begin0:
	.file	1 "/root/src/amdgpu-assembly/repos/triton-lang__triton-aot" "indirect_matmul.py"
	.loc	1 8 0                           ; indirect_matmul.py:8:0
	.cfi_sections .debug_frame
	.cfi_startproc
; %bb.0:
	s_load_b96 s[8:10], s[0:1], 0x30
.Ltmp0:
	.loc	1 42 28 prologue_end            ; indirect_matmul.py:42:28
	s_bfe_u32 s2, ttmp8, 0x50019
	s_delay_alu instid0(SALU_CYCLE_1)
	.loc	1 23 40                         ; indirect_matmul.py:23:40
	s_bfe_u32 s3, s2, 0x10001
	s_and_b32 s11, s2, 2
	s_lshl_b32 s12, s3, 2
	s_lshl_b32 s13, s2, 5
	.loc	1 33 22                         ; indirect_matmul.py:33:22
	s_lshl_b32 s2, s11, 1
	s_or_b32 s3, s12, 8
	s_or_b32 s4, s12, 16
	;; [unrolled: 1-line block ×13, first 2 shown]
	s_wait_kmcnt 0x0
	s_and_b32 s5, s9, 0xffff
	s_or_b32 s23, s12, 0x70
	s_or_b32 s24, s12, 0x78
	.loc	1 32 25                         ; indirect_matmul.py:32:25
	s_cmp_gt_i32 s10, 0
	.loc	1 23 40                         ; indirect_matmul.py:23:40
	v_and_or_b32 v33, v0, 31, s13
	.loc	1 32 25                         ; indirect_matmul.py:32:25
	s_cselect_b32 s29, -1, 0
	s_delay_alu instid0(SALU_CYCLE_1)
	.loc	1 33 22                         ; indirect_matmul.py:33:22
	s_and_b32 s25, s29, exec_lo
	s_cselect_b32 s2, s2, 0x80000000
	s_cselect_b32 s3, s3, 0x80000000
	;; [unrolled: 1-line block ×3, first 2 shown]
	v_dual_mov_b32 v1, s2 :: v_dual_mov_b32 v2, s3
	s_cselect_b32 s26, s6, 0x80000000
	s_cselect_b32 s27, s7, 0x80000000
	;; [unrolled: 1-line block ×5, first 2 shown]
	v_dual_mov_b32 v3, s25 :: v_dual_mov_b32 v4, s26
	s_cselect_b32 s17, s17, 0x80000000
	s_mov_b32 s7, 0x31027000
	s_mov_b32 s6, 0x7ffffffe
	;; [unrolled: 1-line block ×3, first 2 shown]
	s_cselect_b32 s18, s18, 0x80000000
	v_dual_mov_b32 v5, s27 :: v_dual_mov_b32 v6, s14
	v_dual_mov_b32 v7, s15 :: v_dual_mov_b32 v8, s16
	s_cselect_b32 s19, s19, 0x80000000
	s_clause 0x7
	buffer_load_b32 v9, v1, s[4:7], null offen
	buffer_load_b32 v2, v2, s[4:7], null offen
	;; [unrolled: 1-line block ×8, first 2 shown]
	v_dual_mov_b32 v1, s17 :: v_dual_mov_b32 v10, s18
	s_cselect_b32 s20, s20, 0x80000000
	s_cselect_b32 s21, s21, 0x80000000
	;; [unrolled: 1-line block ×5, first 2 shown]
	v_dual_mov_b32 v11, s19 :: v_dual_mov_b32 v12, s20
	v_dual_mov_b32 v13, s21 :: v_dual_mov_b32 v14, s22
	s_wait_alu depctr_sa_sdst(0)
	v_dual_mov_b32 v15, s23 :: v_dual_mov_b32 v16, s24
	s_clause 0x7
	buffer_load_b32 v18, v1, s[4:7], null offen
	buffer_load_b32 v10, v10, s[4:7], null offen
	;; [unrolled: 1-line block ×8, first 2 shown]
	s_load_b96 s[4:6], s[0:1], 0x10
	.loc	1 25 26                         ; indirect_matmul.py:25:26
	v_and_b32_e32 v1, 63, v33
	.loc	1 32 25                         ; indirect_matmul.py:32:25
	s_cmp_lt_i32 s10, 1
	.loc	1 33 22                         ; indirect_matmul.py:33:22
	s_wait_loadcnt 0xf
	v_readfirstlane_b32 s28, v9
	s_wait_loadcnt 0xe
	v_readfirstlane_b32 s27, v2
	v_dual_mov_b32 v2, 0 :: v_dual_lshlrev_b32 v17, 1, v1
	.loc	1 28 17                         ; indirect_matmul.py:28:17
	v_mov_b32_e32 v1, 0
	.loc	1 33 22                         ; indirect_matmul.py:33:22
	s_wait_loadcnt 0xd
	v_readfirstlane_b32 s26, v3
	s_wait_loadcnt 0xc
	v_readfirstlane_b32 s25, v4
	;; [unrolled: 2-line block ×3, first 2 shown]
	.loc	1 28 17                         ; indirect_matmul.py:28:17
	s_wait_kmcnt 0x0
	v_add_co_u32 v34, s2, s4, v17
	s_wait_alu depctr_va_sdst(0)
	v_add_co_ci_u32_e64 v35, null, s5, 0, s2
	.loc	1 33 22                         ; indirect_matmul.py:33:22
	s_wait_loadcnt 0xa
	v_readfirstlane_b32 s23, v6
	s_wait_loadcnt 0x9
	v_readfirstlane_b32 s22, v7
	;; [unrolled: 2-line block ×11, first 2 shown]
	.loc	1 35 20                         ; indirect_matmul.py:35:20
	s_cbranch_scc1 .LBB0_2
; %bb.1:
	.loc	1 0 20 is_stmt 0                ; indirect_matmul.py:0:20
	s_mul_i32 s4, s28, s6
	s_wait_alu depctr_sa_sdst(0)
	s_ashr_i32 s5, s4, 31
	s_wait_alu depctr_sa_sdst(0)
	s_lshl_b64 s[4:5], s[4:5], 1
	s_wait_alu depctr_sa_sdst(0)
	v_add_co_u32 v2, vcc_lo, v34, s4
	s_delay_alu instid0(VALU_DEP_1)
	v_add_co_ci_u32_e64 v3, null, s5, v35, vcc_lo
	.loc	1 35 20                         ; indirect_matmul.py:35:20
	global_load_u16 v2, v[2:3], off
.LBB0_2:
	v_cndmask_b32_e64 v3, 0, 1, s29
	s_and_not1_b32 vcc_lo, exec_lo, s29
	s_delay_alu instid0(VALU_DEP_1)
	v_cmp_ne_u32_e64 s2, 1, v3
	s_wait_alu depctr_sa_sdst(0)
	s_cbranch_vccnz .LBB0_4
; %bb.3:
	.loc	1 35 44                         ; indirect_matmul.py:35:44
	s_mul_i32 s4, s27, s6
	.loc	1 35 29                         ; indirect_matmul.py:35:29
	s_wait_alu depctr_sa_sdst(0)
	s_ashr_i32 s5, s4, 31
	s_wait_alu depctr_sa_sdst(0)
	s_lshl_b64 s[4:5], s[4:5], 1
	s_wait_alu depctr_sa_sdst(0)
	v_add_co_u32 v3, vcc_lo, v34, s4
	s_wait_alu depctr_va_vcc(0)
	v_add_co_ci_u32_e64 v4, null, s5, v35, vcc_lo
	.loc	1 35 20                         ; indirect_matmul.py:35:20
	global_load_u16 v1, v[3:4], off
.LBB0_4:
	.loc	1 0 20                          ; indirect_matmul.py:0:20
	v_dual_mov_b32 v3, 0 :: v_dual_mov_b32 v4, 0
	.loc	1 35 20                         ; indirect_matmul.py:35:20
	s_and_b32 vcc_lo, exec_lo, s2
	s_wait_alu depctr_sa_sdst(0)
	s_cbranch_vccnz .LBB0_6
; %bb.5:
	.loc	1 35 44                         ; indirect_matmul.py:35:44
	s_mul_i32 s4, s26, s6
	.loc	1 35 29                         ; indirect_matmul.py:35:29
	s_wait_alu depctr_sa_sdst(0)
	s_ashr_i32 s5, s4, 31
	s_wait_alu depctr_sa_sdst(0)
	s_lshl_b64 s[4:5], s[4:5], 1
	s_wait_alu depctr_sa_sdst(0)
	v_add_co_u32 v4, vcc_lo, v34, s4
	s_wait_alu depctr_va_vcc(0)
	v_add_co_ci_u32_e64 v5, null, s5, v35, vcc_lo
	.loc	1 35 20                         ; indirect_matmul.py:35:20
	global_load_u16 v4, v[4:5], off
.LBB0_6:
	s_and_b32 vcc_lo, exec_lo, s2
	s_wait_alu depctr_sa_sdst(0)
	s_cbranch_vccnz .LBB0_8
; %bb.7:
	.loc	1 35 44                         ; indirect_matmul.py:35:44
	s_mul_i32 s4, s25, s6
	.loc	1 35 29                         ; indirect_matmul.py:35:29
	s_wait_alu depctr_sa_sdst(0)
	s_ashr_i32 s5, s4, 31
	s_wait_alu depctr_sa_sdst(0)
	s_lshl_b64 s[4:5], s[4:5], 1
	s_wait_alu depctr_sa_sdst(0)
	v_add_co_u32 v5, vcc_lo, v34, s4
	s_wait_alu depctr_va_vcc(0)
	v_add_co_ci_u32_e64 v6, null, s5, v35, vcc_lo
	.loc	1 35 20                         ; indirect_matmul.py:35:20
	global_load_u16 v3, v[5:6], off
.LBB0_8:
	.loc	1 0 20                          ; indirect_matmul.py:0:20
	v_dual_mov_b32 v5, 0 :: v_dual_mov_b32 v6, 0
	.loc	1 35 20                         ; indirect_matmul.py:35:20
	s_and_b32 vcc_lo, exec_lo, s2
	s_wait_alu depctr_sa_sdst(0)
	s_cbranch_vccnz .LBB0_10
; %bb.9:
	.loc	1 35 44                         ; indirect_matmul.py:35:44
	s_mul_i32 s4, s24, s6
	.loc	1 35 29                         ; indirect_matmul.py:35:29
	s_wait_alu depctr_sa_sdst(0)
	s_ashr_i32 s5, s4, 31
	s_wait_alu depctr_sa_sdst(0)
	s_lshl_b64 s[4:5], s[4:5], 1
	s_wait_alu depctr_sa_sdst(0)
	v_add_co_u32 v6, vcc_lo, v34, s4
	s_wait_alu depctr_va_vcc(0)
	v_add_co_ci_u32_e64 v7, null, s5, v35, vcc_lo
	.loc	1 35 20                         ; indirect_matmul.py:35:20
	global_load_u16 v6, v[6:7], off
.LBB0_10:
	s_and_b32 vcc_lo, exec_lo, s2
	;; [unrolled: 39-line block ×6, first 2 shown]
	s_wait_alu depctr_sa_sdst(0)
	s_cbranch_vccnz .LBB0_28
; %bb.27:
	.loc	1 35 44                         ; indirect_matmul.py:35:44
	s_mul_i32 s4, s15, s6
	.loc	1 35 29                         ; indirect_matmul.py:35:29
	s_wait_alu depctr_sa_sdst(0)
	s_ashr_i32 s5, s4, 31
	s_wait_alu depctr_sa_sdst(0)
	s_lshl_b64 s[4:5], s[4:5], 1
	s_wait_alu depctr_sa_sdst(0)
	v_add_co_u32 v15, vcc_lo, v34, s4
	s_wait_alu depctr_va_vcc(0)
	v_add_co_ci_u32_e64 v16, null, s5, v35, vcc_lo
	.loc	1 35 20                         ; indirect_matmul.py:35:20
	global_load_u16 v13, v[15:16], off
.LBB0_28:
	.loc	1 0 20                          ; indirect_matmul.py:0:20
	s_load_b64 s[4:5], s[0:1], 0x20
	v_dual_mov_b32 v15, 0 :: v_dual_mov_b32 v16, 0
	.loc	1 35 20                         ; indirect_matmul.py:35:20
	s_and_b32 vcc_lo, exec_lo, s2
	s_wait_alu depctr_sa_sdst(0)
	s_cbranch_vccnz .LBB0_30
; %bb.29:
	.loc	1 35 44                         ; indirect_matmul.py:35:44
	s_mul_i32 s30, s14, s6
	s_delay_alu instid0(SALU_CYCLE_1) | instskip(NEXT) | instid1(SALU_CYCLE_1)
	.loc	1 35 29                         ; indirect_matmul.py:35:29
	s_ashr_i32 s31, s30, 31
	s_lshl_b64 s[30:31], s[30:31], 1
	s_delay_alu instid0(SALU_CYCLE_1)
	v_add_co_u32 v18, vcc_lo, v34, s30
	s_wait_alu depctr_va_vcc(0)
	v_add_co_ci_u32_e64 v19, null, s31, v35, vcc_lo
	.loc	1 35 20                         ; indirect_matmul.py:35:20
	global_load_u16 v16, v[18:19], off
.LBB0_30:
	s_and_b32 vcc_lo, exec_lo, s2
	s_wait_alu depctr_sa_sdst(0)
	s_cbranch_vccnz .LBB0_32
; %bb.31:
	.loc	1 35 44                         ; indirect_matmul.py:35:44
	s_mul_i32 s30, s3, s6
	.loc	1 35 29                         ; indirect_matmul.py:35:29
	s_wait_alu depctr_sa_sdst(0)
	s_ashr_i32 s31, s30, 31
	s_wait_alu depctr_sa_sdst(0)
	s_lshl_b64 s[30:31], s[30:31], 1
	s_wait_alu depctr_sa_sdst(0)
	v_add_co_u32 v18, vcc_lo, v34, s30
	s_wait_alu depctr_va_vcc(0)
	v_add_co_ci_u32_e64 v19, null, s31, v35, vcc_lo
	.loc	1 35 20                         ; indirect_matmul.py:35:20
	global_load_u16 v15, v[18:19], off
.LBB0_32:
	.loc	1 0 20                          ; indirect_matmul.py:0:20
	s_load_b32 s7, s[0:1], 0x28
	.loc	1 29 17 is_stmt 1               ; indirect_matmul.py:29:17
	s_wait_kmcnt 0x0
	v_add_co_u32 v44, s4, s4, v17
	v_dual_mov_b32 v36, 0 :: v_dual_mov_b32 v37, 0
	s_wait_alu depctr_va_sdst(0)
	v_add_co_ci_u32_e64 v45, null, s5, 0, s4
	.loc	1 36 20                         ; indirect_matmul.py:36:20
	s_and_b32 vcc_lo, exec_lo, s2
	s_wait_alu depctr_sa_sdst(0)
	s_cbranch_vccnz .LBB0_34
; %bb.33:
	.loc	1 0 20 is_stmt 0                ; indirect_matmul.py:0:20
	s_mul_i32 s4, s28, s7
	s_wait_alu depctr_sa_sdst(0)
	s_ashr_i32 s5, s4, 31
	s_wait_alu depctr_sa_sdst(0)
	s_lshl_b64 s[4:5], s[4:5], 1
	s_wait_alu depctr_sa_sdst(0)
	v_add_co_u32 v17, vcc_lo, v44, s4
	s_wait_alu depctr_va_vcc(0)
	v_add_co_ci_u32_e64 v18, null, s5, v45, vcc_lo
	.loc	1 36 20                         ; indirect_matmul.py:36:20
	global_load_u16 v37, v[17:18], off
.LBB0_34:
	s_and_b32 vcc_lo, exec_lo, s2
	s_wait_alu depctr_sa_sdst(0)
	s_cbranch_vccnz .LBB0_36
; %bb.35:
	.loc	1 36 44                         ; indirect_matmul.py:36:44
	s_mul_i32 s4, s27, s7
	.loc	1 36 29                         ; indirect_matmul.py:36:29
	s_wait_alu depctr_sa_sdst(0)
	s_ashr_i32 s5, s4, 31
	s_wait_alu depctr_sa_sdst(0)
	s_lshl_b64 s[4:5], s[4:5], 1
	s_wait_alu depctr_sa_sdst(0)
	v_add_co_u32 v17, vcc_lo, v44, s4
	s_wait_alu depctr_va_vcc(0)
	v_add_co_ci_u32_e64 v18, null, s5, v45, vcc_lo
	.loc	1 36 20                         ; indirect_matmul.py:36:20
	global_load_u16 v36, v[17:18], off
.LBB0_36:
	.loc	1 0 20                          ; indirect_matmul.py:0:20
	v_dual_mov_b32 v38, 0 :: v_dual_mov_b32 v39, 0
	.loc	1 36 20                         ; indirect_matmul.py:36:20
	s_and_b32 vcc_lo, exec_lo, s2
	s_wait_alu depctr_sa_sdst(0)
	s_cbranch_vccnz .LBB0_38
; %bb.37:
	.loc	1 36 44                         ; indirect_matmul.py:36:44
	s_mul_i32 s4, s26, s7
	.loc	1 36 29                         ; indirect_matmul.py:36:29
	s_wait_alu depctr_sa_sdst(0)
	s_ashr_i32 s5, s4, 31
	s_wait_alu depctr_sa_sdst(0)
	s_lshl_b64 s[4:5], s[4:5], 1
	s_wait_alu depctr_sa_sdst(0)
	v_add_co_u32 v17, vcc_lo, v44, s4
	s_wait_alu depctr_va_vcc(0)
	v_add_co_ci_u32_e64 v18, null, s5, v45, vcc_lo
	.loc	1 36 20                         ; indirect_matmul.py:36:20
	global_load_u16 v39, v[17:18], off
.LBB0_38:
	s_and_b32 vcc_lo, exec_lo, s2
	s_wait_alu depctr_sa_sdst(0)
	s_cbranch_vccnz .LBB0_40
; %bb.39:
	.loc	1 36 44                         ; indirect_matmul.py:36:44
	s_mul_i32 s4, s25, s7
	.loc	1 36 29                         ; indirect_matmul.py:36:29
	s_wait_alu depctr_sa_sdst(0)
	s_ashr_i32 s5, s4, 31
	s_wait_alu depctr_sa_sdst(0)
	s_lshl_b64 s[4:5], s[4:5], 1
	s_wait_alu depctr_sa_sdst(0)
	v_add_co_u32 v17, vcc_lo, v44, s4
	s_wait_alu depctr_va_vcc(0)
	v_add_co_ci_u32_e64 v18, null, s5, v45, vcc_lo
	.loc	1 36 20                         ; indirect_matmul.py:36:20
	global_load_u16 v38, v[17:18], off
.LBB0_40:
	.loc	1 0 20                          ; indirect_matmul.py:0:20
	v_dual_mov_b32 v40, 0 :: v_dual_mov_b32 v41, 0
	.loc	1 36 20                         ; indirect_matmul.py:36:20
	s_and_b32 vcc_lo, exec_lo, s2
	s_wait_alu depctr_sa_sdst(0)
	s_cbranch_vccnz .LBB0_42
; %bb.41:
	.loc	1 36 44                         ; indirect_matmul.py:36:44
	s_mul_i32 s4, s24, s7
	.loc	1 36 29                         ; indirect_matmul.py:36:29
	s_wait_alu depctr_sa_sdst(0)
	s_ashr_i32 s5, s4, 31
	s_wait_alu depctr_sa_sdst(0)
	s_lshl_b64 s[4:5], s[4:5], 1
	s_wait_alu depctr_sa_sdst(0)
	v_add_co_u32 v17, vcc_lo, v44, s4
	s_wait_alu depctr_va_vcc(0)
	v_add_co_ci_u32_e64 v18, null, s5, v45, vcc_lo
	.loc	1 36 20                         ; indirect_matmul.py:36:20
	global_load_u16 v41, v[17:18], off
.LBB0_42:
	;; [unrolled: 39-line block ×7, first 2 shown]
	s_and_b32 vcc_lo, exec_lo, s2
	s_wait_alu depctr_sa_sdst(0)
	s_cbranch_vccnz .LBB0_64
; %bb.63:
	.loc	1 36 44                         ; indirect_matmul.py:36:44
	s_mul_i32 s2, s3, s7
	.loc	1 36 29                         ; indirect_matmul.py:36:29
	s_wait_alu depctr_sa_sdst(0)
	s_ashr_i32 s3, s2, 31
	s_wait_alu depctr_sa_sdst(0)
	s_lshl_b64 s[2:3], s[2:3], 1
	s_wait_alu depctr_sa_sdst(0)
	v_add_co_u32 v17, vcc_lo, v44, s2
	s_wait_alu depctr_va_vcc(0)
	v_add_co_ci_u32_e64 v18, null, s3, v45, vcc_lo
	.loc	1 36 20                         ; indirect_matmul.py:36:20
	global_load_u16 v57, v[17:18], off
.LBB0_64:
	.loc	1 35 20 is_stmt 1               ; indirect_matmul.py:35:20
	v_lshlrev_b32_e32 v17, 1, v33
	.loc	1 32 25                         ; indirect_matmul.py:32:25
	s_sub_co_i32 s14, s10, 32
	.loc	1 35 20                         ; indirect_matmul.py:35:20
	s_mov_b32 s4, 0
	.loc	1 32 25                         ; indirect_matmul.py:32:25
	s_wait_alu depctr_sa_sdst(0)
	s_cmp_gt_i32 s14, 0
	.loc	1 35 20                         ; indirect_matmul.py:35:20
	v_and_b32_e32 v17, 0xfe, v17
	s_delay_alu instid0(VALU_DEP_1)
	v_add_nc_u32_e32 v46, 0, v17
	v_lshlrev_b32_e32 v17, 6, v0
	s_wait_loadcnt 0x0
	ds_store_b16 v46, v2
	ds_store_b16 v46, v1 offset:256
	ds_store_b16 v46, v4 offset:512
	;; [unrolled: 1-line block ×15, first 2 shown]
	.loc	1 32 25                         ; indirect_matmul.py:32:25
	s_cbranch_scc1 .LBB0_67
; %bb.65:                               ; %.._crit_edge_crit_edge
	.loc	1 35 20                         ; indirect_matmul.py:35:20
	s_and_b32 s2, s13, 32
	s_wait_alu depctr_sa_sdst(0)
	v_dual_mov_b32 v54, s2 :: v_dual_and_b32 v47, 0x400, v17
	s_load_b64 s[2:3], s[0:1], 0x0
	v_mov_b32_e32 v8, 0
	s_and_not1_b32 vcc_lo, exec_lo, s4
	s_wait_alu depctr_sa_sdst(0)
	s_cbranch_vccz .LBB0_68
; %bb.66:
	.loc	1 0 20 is_stmt 0                ; indirect_matmul.py:0:20
	s_delay_alu instid0(VALU_DEP_1)
	v_dual_mov_b32 v7, v8 :: v_dual_mov_b32 v6, v8
	v_dual_mov_b32 v5, v8 :: v_dual_mov_b32 v4, v8
	;; [unrolled: 1-line block ×15, first 2 shown]
	v_mov_b32_e32 v25, v8
	s_branch .LBB0_71
.LBB0_67:
                                        ; implicit-def: $vgpr47
                                        ; implicit-def: $vgpr54
	s_load_b64 s[2:3], s[0:1], 0x0
	v_mov_b32_e32 v8, 0
.LBB0_68:                               ; %.lr.ph
	v_dual_mov_b32 v54, 0 :: v_dual_and_b32 v47, 0x400, v17
	v_lshlrev_b32_e32 v1, 1, v0
	s_and_b32 s15, s13, 32
	s_mov_b32 s13, 0
	s_delay_alu instid0(VALU_DEP_2) | instskip(NEXT) | instid1(VALU_DEP_2)
	v_dual_mov_b32 v25, 0 :: v_dual_add_nc_u32 v2, 0, v47
	v_dual_mov_b32 v26, v54 :: v_dual_and_b32 v1, 30, v1
	s_wait_alu depctr_sa_sdst(0)
	s_delay_alu instid0(VALU_DEP_2)
	v_dual_mov_b32 v28, v54 :: v_dual_add_nc_u32 v3, s15, v2
	v_mov_b32_e32 v30, v54
	v_lshl_add_u32 v2, s11, 4, v2
	v_dual_mov_b32 v27, v54 :: v_dual_mov_b32 v32, v54
	v_dual_mov_b32 v29, v54 :: v_dual_mov_b32 v18, v54
	v_dual_mov_b32 v20, v54 :: v_dual_add_nc_u32 v55, v3, v1
	s_delay_alu instid0(VALU_DEP_4)
	v_dual_mov_b32 v17, 0 :: v_dual_add_nc_u32 v56, v2, v1
	v_dual_mov_b32 v31, v54 :: v_dual_mov_b32 v22, v54
	v_dual_mov_b32 v19, v54 :: v_dual_mov_b32 v24, v54
	;; [unrolled: 1-line block ×10, first 2 shown]
	v_mov_b32_e32 v5, v54
	v_mov_b32_e32 v7, v54
	.loc	1 32 25 is_stmt 1               ; indirect_matmul.py:32:25
	s_add_nc_u64 s[4:5], s[8:9], s[12:13]
	s_wait_alu depctr_sa_sdst(0)
	s_add_nc_u64 s[4:5], s[4:5], 0xf8
.LBB0_69:                               ; =>This Inner Loop Header: Depth=1
	.loc	1 33 22                         ; indirect_matmul.py:33:22
	s_clause 0xf
	global_load_b32 v74, v54, s[4:5] offset:-120
	global_load_b32 v75, v54, s[4:5] offset:-112
	;; [unrolled: 1-line block ×15, first 2 shown]
	global_load_b32 v89, v54, s[4:5]
	v_dual_mov_b32 v109, v58 :: v_dual_mov_b32 v110, v57
	.loc	1 32 25                         ; indirect_matmul.py:32:25
	s_add_co_i32 s13, s13, 32
	s_wait_alu depctr_sa_sdst(0)
	s_add_nc_u64 s[4:5], s[4:5], 0x80
	s_cmp_lt_i32 s13, s14
	v_mov_b32_e32 v108, v52
	.loc	1 35 44                         ; indirect_matmul.py:35:44
	s_wait_loadcnt 0xf
	v_mul_lo_u32 v59, v74, s6
	s_wait_loadcnt 0xe
	v_mul_lo_u32 v61, v75, s6
	;; [unrolled: 2-line block ×8, first 2 shown]
	.loc	1 35 29 is_stmt 0               ; indirect_matmul.py:35:29
	v_ashrrev_i32_e32 v60, 31, v59
	v_ashrrev_i32_e32 v62, 31, v61
	;; [unrolled: 1-line block ×4, first 2 shown]
	.loc	1 35 44                         ; indirect_matmul.py:35:44
	s_wait_loadcnt 0x7
	v_mul_lo_u32 v92, v82, s6
	.loc	1 35 29                         ; indirect_matmul.py:35:29
	v_lshlrev_b64_e32 v[59:60], 1, v[59:60]
	v_lshlrev_b64_e32 v[61:62], 1, v[61:62]
	v_ashrrev_i32_e32 v68, 31, v67
	v_lshlrev_b64_e32 v[63:64], 1, v[63:64]
	.loc	1 35 44                         ; indirect_matmul.py:35:44
	s_wait_loadcnt 0x6
	v_mul_lo_u32 v94, v83, s6
	.loc	1 35 29                         ; indirect_matmul.py:35:29
	v_ashrrev_i32_e32 v70, 31, v69
	v_lshlrev_b64_e32 v[65:66], 1, v[65:66]
	v_add_co_u32 v59, vcc_lo, v34, v59
	.loc	1 35 44                         ; indirect_matmul.py:35:44
	s_wait_loadcnt 0x5
	v_mul_lo_u32 v96, v84, s6
	.loc	1 35 29                         ; indirect_matmul.py:35:29
	v_ashrrev_i32_e32 v72, 31, v71
	v_lshlrev_b64_e32 v[67:68], 1, v[67:68]
	s_wait_alu depctr_va_vcc(0)
	v_add_co_ci_u32_e64 v60, null, v35, v60, vcc_lo
	v_add_co_u32 v61, vcc_lo, v34, v61
	.loc	1 35 44                         ; indirect_matmul.py:35:44
	s_wait_loadcnt 0x4
	v_mul_lo_u32 v98, v85, s6
	.loc	1 35 29                         ; indirect_matmul.py:35:29
	v_ashrrev_i32_e32 v91, 31, v90
	v_lshlrev_b64_e32 v[69:70], 1, v[69:70]
	s_wait_alu depctr_va_vcc(0)
	v_add_co_ci_u32_e64 v62, null, v35, v62, vcc_lo
	;; [unrolled: 9-line block ×6, first 2 shown]
	v_add_co_u32 v71, vcc_lo, v34, v71
	v_ashrrev_i32_e32 v101, 31, v100
	v_lshlrev_b64_e32 v[96:97], 1, v[96:97]
	s_wait_alu depctr_va_vcc(0)
	v_add_co_ci_u32_e64 v72, null, v35, v72, vcc_lo
	v_add_co_u32 v90, vcc_lo, v34, v90
	v_ashrrev_i32_e32 v103, 31, v102
	v_lshlrev_b64_e32 v[98:99], 1, v[98:99]
	s_wait_alu depctr_va_vcc(0)
	v_add_co_ci_u32_e64 v91, null, v35, v91, vcc_lo
	;; [unrolled: 5-line block ×4, first 2 shown]
	v_add_co_u32 v96, vcc_lo, v34, v96
	v_lshlrev_b64_e32 v[104:105], 1, v[104:105]
	s_wait_alu depctr_va_vcc(0)
	v_add_co_ci_u32_e64 v97, null, v35, v97, vcc_lo
	v_add_co_u32 v98, vcc_lo, v34, v98
	v_lshlrev_b64_e32 v[106:107], 1, v[106:107]
	s_wait_alu depctr_va_vcc(0)
	v_add_co_ci_u32_e64 v99, null, v35, v99, vcc_lo
	v_add_co_u32 v100, vcc_lo, v34, v100
	s_wait_alu depctr_va_vcc(0)
	v_add_co_ci_u32_e64 v101, null, v35, v101, vcc_lo
	v_add_co_u32 v102, vcc_lo, v34, v102
	;; [unrolled: 3-line block ×4, first 2 shown]
	s_wait_alu depctr_va_vcc(0)
	v_add_co_ci_u32_e64 v107, null, v35, v107, vcc_lo
	.loc	1 35 20                         ; indirect_matmul.py:35:20
	s_clause 0xf
	global_load_u16 v59, v[59:60], off
	global_load_u16 v60, v[61:62], off
	;; [unrolled: 1-line block ×16, first 2 shown]
	v_dual_mov_b32 v95, v37 :: v_dual_mov_b32 v96, v36
	.loc	1 36 44 is_stmt 1               ; indirect_matmul.py:36:44
	v_mul_lo_u32 v36, v74, s7
	v_dual_mov_b32 v97, v39 :: v_dual_mov_b32 v98, v38
	v_mul_lo_u32 v38, v75, s7
	v_dual_mov_b32 v99, v41 :: v_dual_mov_b32 v100, v40
	;; [unrolled: 2-line block ×4, first 2 shown]
	v_mul_lo_u32 v48, v78, s7
	.loc	1 36 29 is_stmt 0               ; indirect_matmul.py:36:29
	v_ashrrev_i32_e32 v37, 31, v36
	v_dual_mov_b32 v105, v51 :: v_dual_mov_b32 v106, v50
	.loc	1 36 44                         ; indirect_matmul.py:36:44
	v_mul_lo_u32 v50, v79, s7
	.loc	1 36 29                         ; indirect_matmul.py:36:29
	v_ashrrev_i32_e32 v39, 31, v38
	v_mov_b32_e32 v107, v53
	.loc	1 36 44                         ; indirect_matmul.py:36:44
	v_mul_lo_u32 v52, v80, s7
	.loc	1 36 29                         ; indirect_matmul.py:36:29
	v_ashrrev_i32_e32 v41, 31, v40
	v_lshlrev_b64_e32 v[36:37], 1, v[36:37]
	.loc	1 36 44                         ; indirect_matmul.py:36:44
	v_mul_lo_u32 v57, v81, s7
	.loc	1 36 29                         ; indirect_matmul.py:36:29
	v_ashrrev_i32_e32 v43, 31, v42
	v_lshlrev_b64_e32 v[38:39], 1, v[38:39]
	;; [unrolled: 5-line block ×4, first 2 shown]
	v_add_co_u32 v36, vcc_lo, v44, v36
	.loc	1 36 44                         ; indirect_matmul.py:36:44
	v_mul_lo_u32 v78, v84, s7
	.loc	1 36 29                         ; indirect_matmul.py:36:29
	v_ashrrev_i32_e32 v53, 31, v52
	v_lshlrev_b64_e32 v[48:49], 1, v[48:49]
	s_wait_alu depctr_va_vcc(0)
	v_add_co_ci_u32_e64 v37, null, v45, v37, vcc_lo
	v_add_co_u32 v38, vcc_lo, v44, v38
	.loc	1 36 44                         ; indirect_matmul.py:36:44
	v_mul_lo_u32 v80, v85, s7
	.loc	1 36 29                         ; indirect_matmul.py:36:29
	v_ashrrev_i32_e32 v58, 31, v57
	v_lshlrev_b64_e32 v[50:51], 1, v[50:51]
	s_wait_alu depctr_va_vcc(0)
	v_add_co_ci_u32_e64 v39, null, v45, v39, vcc_lo
	v_add_co_u32 v40, vcc_lo, v44, v40
	v_ashrrev_i32_e32 v75, 31, v74
	v_lshlrev_b64_e32 v[52:53], 1, v[52:53]
	s_wait_alu depctr_va_vcc(0)
	v_add_co_ci_u32_e64 v41, null, v45, v41, vcc_lo
	v_add_co_u32 v42, vcc_lo, v44, v42
	v_ashrrev_i32_e32 v77, 31, v76
	v_lshlrev_b64_e32 v[57:58], 1, v[57:58]
	s_wait_alu depctr_va_vcc(0)
	v_add_co_ci_u32_e64 v43, null, v45, v43, vcc_lo
	v_add_co_u32 v48, vcc_lo, v44, v48
	v_ashrrev_i32_e32 v79, 31, v78
	v_lshlrev_b64_e32 v[74:75], 1, v[74:75]
	s_wait_alu depctr_va_vcc(0)
	v_add_co_ci_u32_e64 v49, null, v45, v49, vcc_lo
	v_add_co_u32 v50, vcc_lo, v44, v50
	v_ashrrev_i32_e32 v81, 31, v80
	v_lshlrev_b64_e32 v[76:77], 1, v[76:77]
	s_wait_alu depctr_va_vcc(0)
	v_add_co_ci_u32_e64 v51, null, v45, v51, vcc_lo
	v_add_co_u32 v52, vcc_lo, v44, v52
	v_lshlrev_b64_e32 v[78:79], 1, v[78:79]
	s_wait_alu depctr_va_vcc(0)
	v_add_co_ci_u32_e64 v53, null, v45, v53, vcc_lo
	v_add_co_u32 v57, vcc_lo, v44, v57
	.loc	1 36 44                         ; indirect_matmul.py:36:44
	v_mul_lo_u32 v82, v86, s7
	.loc	1 36 29                         ; indirect_matmul.py:36:29
	v_lshlrev_b64_e32 v[80:81], 1, v[80:81]
	s_wait_alu depctr_va_vcc(0)
	v_add_co_ci_u32_e64 v58, null, v45, v58, vcc_lo
	v_add_co_u32 v91, vcc_lo, v44, v74
	.loc	1 36 44                         ; indirect_matmul.py:36:44
	v_mul_lo_u32 v84, v87, s7
	.loc	1 36 29                         ; indirect_matmul.py:36:29
	s_wait_alu depctr_va_vcc(0)
	v_add_co_ci_u32_e64 v92, null, v45, v75, vcc_lo
	v_add_co_u32 v76, vcc_lo, v44, v76
	.loc	1 36 44                         ; indirect_matmul.py:36:44
	v_mul_lo_u32 v86, v88, s7
	.loc	1 36 29                         ; indirect_matmul.py:36:29
	;; [unrolled: 6-line block ×3, first 2 shown]
	s_wait_alu depctr_va_vcc(0)
	v_add_co_ci_u32_e64 v79, null, v45, v79, vcc_lo
	v_add_co_u32 v93, vcc_lo, v44, v80
	v_ashrrev_i32_e32 v83, 31, v82
	s_wait_alu depctr_va_vcc(0)
	v_add_co_ci_u32_e64 v94, null, v45, v81, vcc_lo
	v_ashrrev_i32_e32 v85, 31, v84
	v_ashrrev_i32_e32 v87, 31, v86
	v_lshlrev_b64_e32 v[82:83], 1, v[82:83]
	v_ashrrev_i32_e32 v89, 31, v88
	s_delay_alu instid0(VALU_DEP_4) | instskip(NEXT) | instid1(VALU_DEP_4)
	v_lshlrev_b64_e32 v[84:85], 1, v[84:85]
	v_lshlrev_b64_e32 v[86:87], 1, v[86:87]
	s_delay_alu instid0(VALU_DEP_3)
	v_lshlrev_b64_e32 v[88:89], 1, v[88:89]
	v_add_co_u32 v82, vcc_lo, v44, v82
	s_wait_alu depctr_va_vcc(0)
	v_add_co_ci_u32_e64 v83, null, v45, v83, vcc_lo
	v_add_co_u32 v84, vcc_lo, v44, v84
	s_wait_alu depctr_va_vcc(0)
	v_add_co_ci_u32_e64 v85, null, v45, v85, vcc_lo
	;; [unrolled: 3-line block ×4, first 2 shown]
	.loc	1 35 20 is_stmt 1               ; indirect_matmul.py:35:20
	s_wait_loadcnt_dscnt 0x0
	s_barrier_signal -1
	s_barrier_wait -1
	global_inv scope:SCOPE_SE
	ds_load_u16 v75, v55 offset:2304
	ds_load_u16 v81, v55 offset:832
	.loc	1 36 20                         ; indirect_matmul.py:36:20
	s_clause 0xf
	global_load_u16 v37, v[36:37], off
	global_load_u16 v36, v[38:39], off
	global_load_u16 v39, v[40:41], off
	global_load_u16 v38, v[42:43], off
	global_load_u16 v41, v[48:49], off
	global_load_u16 v40, v[50:51], off
	global_load_u16 v43, v[52:53], off
	global_load_u16 v42, v[57:58], off
	global_load_u16 v49, v[91:92], off
	global_load_u16 v48, v[76:77], off
	global_load_u16 v51, v[78:79], off
	global_load_u16 v50, v[93:94], off
	global_load_u16 v53, v[82:83], off
	global_load_u16 v52, v[84:85], off
	global_load_u16 v58, v[86:87], off
	global_load_u16 v57, v[88:89], off
	.loc	1 35 20                         ; indirect_matmul.py:35:20
	ds_load_u16 v83, v55 offset:256
	ds_load_u16 v84, v55 offset:512
	;; [unrolled: 1-line block ×12, first 2 shown]
	ds_load_u16 v82, v55
	s_wait_dscnt 0xe
	ds_load_u16_d16_hi v75, v55 offset:2432
	s_wait_dscnt 0xe
	ds_load_u16_d16_hi v81, v55 offset:960
	ds_load_u16 v78, v55 offset:64
	s_wait_dscnt 0xc
	ds_load_u16_d16_hi v74, v55 offset:2176
	ds_load_u16_d16_hi v83, v55 offset:384
	;; [unrolled: 1-line block ×4, first 2 shown]
	s_wait_dscnt 0xf
	ds_load_u16_d16_hi v80, v55 offset:704
	s_wait_dscnt 0xe
	ds_load_u16_d16_hi v76, v55 offset:2688
	;; [unrolled: 2-line block ×4, first 2 shown]
	ds_load_u16_d16_hi v77, v55 offset:2944
	s_wait_dscnt 0xd
	ds_load_u16_d16_hi v89, v55 offset:3008
	ds_load_u16_d16_hi v88, v55 offset:2752
	s_wait_dscnt 0xe
	ds_load_u16_d16_hi v82, v55 offset:128
	s_wait_dscnt 0xc
	ds_load_u16_d16_hi v78, v55 offset:192
	ds_load_u16_d16_hi v79, v55 offset:448
	.loc	1 38 21                         ; indirect_matmul.py:38:21
	ds_store_b16 v46, v95 offset:4096
	ds_store_b16 v46, v96 offset:4352
	;; [unrolled: 1-line block ×16, first 2 shown]
	s_wait_loadcnt_dscnt 0x0
	s_barrier_signal -1
	s_barrier_wait -1
	global_inv scope:SCOPE_SE
	ds_load_u16 v94, v56 offset:4928
	ds_load_u16 v95, v56 offset:6144
	;; [unrolled: 1-line block ×11, first 2 shown]
	s_wait_dscnt 0xa
	ds_load_u16_d16_hi v94, v56 offset:5056
	s_wait_dscnt 0xa
	ds_load_u16_d16_hi v95, v56 offset:6272
	;; [unrolled: 2-line block ×3, first 2 shown]
	ds_load_u16 v104, v56 offset:4352
	ds_load_u16 v91, v56 offset:4160
	;; [unrolled: 1-line block ×5, first 2 shown]
	s_wait_dscnt 0xa
	ds_load_u16_d16_hi v105, v56 offset:4736
	s_wait_dscnt 0xa
	ds_load_u16_d16_hi v106, v56 offset:4992
	ds_load_u16_d16_hi v99, v56 offset:6336
	;; [unrolled: 1-line block ×3, first 2 shown]
	s_wait_dscnt 0xc
	ds_load_u16_d16_hi v103, v56 offset:4224
	s_wait_dscnt 0x9
	ds_load_u16_d16_hi v104, v56 offset:4480
	;; [unrolled: 2-line block ×3, first 2 shown]
	ds_load_u16_d16_hi v93, v56 offset:4800
	ds_load_u16_d16_hi v92, v56 offset:4544
	s_wait_dscnt 0xb
	ds_load_u16_d16_hi v100, v56 offset:6592
	ds_load_u16_d16_hi v98, v56 offset:7040
	s_wait_dscnt 0xc
	ds_load_u16_d16_hi v102, v56 offset:7104
	s_wait_dscnt 0xc
	ds_load_u16_d16_hi v101, v56 offset:6848
	.loc	1 35 20                         ; indirect_matmul.py:35:20
	ds_store_b16 v46, v59
	ds_store_b16 v46, v60 offset:256
	ds_store_b16 v46, v61 offset:512
	ds_store_b16 v46, v62 offset:768
	ds_store_b16 v46, v63 offset:1024
	ds_store_b16 v46, v64 offset:1280
	ds_store_b16 v46, v65 offset:1536
	ds_store_b16 v46, v66 offset:1792
	ds_store_b16 v46, v67 offset:2048
	ds_store_b16 v46, v68 offset:2304
	ds_store_b16 v46, v69 offset:2560
	ds_store_b16 v46, v90 offset:2816
	ds_store_b16 v46, v70 offset:3072
	ds_store_b16 v46, v71 offset:3328
	ds_store_b16 v46, v72 offset:3584
	ds_store_b16 v46, v73 offset:3840
	.loc	1 38 26                         ; indirect_matmul.py:38:26
	s_wait_dscnt 0x17
	v_wmma_f32_16x16x16_bf16 v[25:32], v[82:85], v[103:106], v[25:32]
	v_wmma_f32_16x16x16_bf16 v[17:24], v[78:81], v[103:106], v[17:24]
	s_wait_dscnt 0x14
	v_wmma_f32_16x16x16_bf16 v[9:16], v[82:85], v[91:94], v[9:16]
	v_wmma_f32_16x16x16_bf16 v[1:8], v[78:81], v[91:94], v[1:8]
	;; [unrolled: 3-line block ×4, first 2 shown]
	.loc	1 32 25                         ; indirect_matmul.py:32:25
	s_cbranch_scc1 .LBB0_69
; %bb.70:                               ; %Flow
	.loc	1 0 25 is_stmt 0                ; indirect_matmul.py:0:25
	v_mov_b32_e32 v54, s15
.LBB0_71:                               ; %Flow222
	.loc	1 35 20 is_stmt 1               ; indirect_matmul.py:35:20
	s_wait_loadcnt_dscnt 0x0
	s_barrier_signal -1
	v_and_b32_e32 v0, 15, v0
	v_add_nc_u32_e32 v83, 0, v47
	s_load_b32 s0, s[0:1], 0x8
	.loc	1 32 25                         ; indirect_matmul.py:32:25
	s_add_co_i32 s1, s10, 31
	s_delay_alu instid0(VALU_DEP_2) | instskip(SKIP_1) | instid1(VALU_DEP_1)
	.loc	1 35 20                         ; indirect_matmul.py:35:20
	v_lshlrev_b32_e32 v84, 1, v0
	.loc	1 32 25                         ; indirect_matmul.py:32:25
	s_cmp_lt_i32 s1, 32
	.loc	1 35 20                         ; indirect_matmul.py:35:20
	v_add3_u32 v68, v83, v54, v84
	s_barrier_wait -1
	global_inv scope:SCOPE_SE
	ds_load_u16 v63, v68
	ds_load_u16 v64, v68 offset:128
	ds_load_u16 v69, v68 offset:256
	;; [unrolled: 1-line block ×31, first 2 shown]
	.loc	1 38 21                         ; indirect_matmul.py:38:21
	ds_store_b16 v46, v37 offset:4096
	ds_store_b16 v46, v36 offset:4352
	;; [unrolled: 1-line block ×16, first 2 shown]
	s_wait_loadcnt_dscnt 0x0
	s_barrier_signal -1
	s_barrier_wait -1
	global_inv scope:SCOPE_SE
	s_cbranch_scc1 .LBB0_73
; %bb.72:
	s_lshl_b32 s1, s11, 4
	.loc	1 38 26 is_stmt 0               ; indirect_matmul.py:38:26
	v_perm_b32 v82, v82, v81, 0x5040100
	.loc	1 38 21                         ; indirect_matmul.py:38:21
	v_add3_u32 v46, v83, s1, v84
	.loc	1 38 26                         ; indirect_matmul.py:38:26
	v_perm_b32 v81, v80, v79, 0x5040100
	v_perm_b32 v80, v70, v69, 0x5040100
	;; [unrolled: 1-line block ×4, first 2 shown]
	.loc	1 38 21                         ; indirect_matmul.py:38:21
	ds_load_u16 v36, v46 offset:6144
	ds_load_u16 v43, v46 offset:4928
	;; [unrolled: 1-line block ×7, first 2 shown]
	.loc	1 38 26                         ; indirect_matmul.py:38:26
	v_perm_b32 v59, v59, v62, 0x5040100
	v_perm_b32 v58, v34, v44, 0x5040100
	;; [unrolled: 1-line block ×11, first 2 shown]
	.loc	1 38 21                         ; indirect_matmul.py:38:21
	s_wait_dscnt 0x6
	ds_load_u16_d16_hi v36, v46 offset:6272
	ds_load_u16 v51, v46 offset:4864
	ds_load_u16 v50, v46 offset:4608
	;; [unrolled: 1-line block ×9, first 2 shown]
	s_wait_dscnt 0xf
	ds_load_u16_d16_hi v43, v46 offset:5056
	s_wait_dscnt 0xf
	ds_load_u16_d16_hi v37, v46 offset:6528
	;; [unrolled: 2-line block ×3, first 2 shown]
	ds_load_u16_d16_hi v40, v46 offset:4288
	s_wait_dscnt 0xf
	ds_load_u16_d16_hi v42, v46 offset:4800
	s_wait_dscnt 0xf
	;; [unrolled: 2-line block ×11, first 2 shown]
	ds_load_u16_d16_hi v83, v46 offset:6336
	.loc	1 38 26                         ; indirect_matmul.py:38:26
	s_wait_dscnt 0x9
	v_wmma_f32_16x16x16_bf16 v[9:16], v[79:82], v[40:43], v[9:16]
	v_wmma_f32_16x16x16_bf16 v[1:8], v[57:60], v[40:43], v[1:8]
	s_wait_dscnt 0x6
	v_wmma_f32_16x16x16_bf16 v[25:32], v[79:82], v[48:51], v[25:32]
	v_wmma_f32_16x16x16_bf16 v[17:24], v[57:60], v[48:51], v[17:24]
	s_wait_dscnt 0x1
	s_delay_alu instid0(VALU_DEP_2) | instskip(NEXT) | instid1(VALU_DEP_2)
	v_wmma_f32_16x16x16_bf16 v[25:32], v[74:77], v[36:39], v[25:32]
	v_wmma_f32_16x16x16_bf16 v[17:24], v[61:64], v[36:39], v[17:24]
	s_wait_dscnt 0x0
	v_wmma_f32_16x16x16_bf16 v[9:16], v[74:77], v[83:86], v[9:16]
	v_wmma_f32_16x16x16_bf16 v[1:8], v[61:64], v[83:86], v[1:8]
.LBB0_73:                               ; %._crit_edge._crit_edge
	.loc	1 26 35 is_stmt 1               ; indirect_matmul.py:26:35
	v_lshrrev_b32_e32 v33, 1, v33
	.loc	1 42 21                         ; indirect_matmul.py:42:21
	v_lshlrev_b32_e32 v0, 2, v0
	s_delay_alu instid0(VALU_DEP_2) | instskip(NEXT) | instid1(VALU_DEP_2)
	.loc	1 26 35                         ; indirect_matmul.py:26:35
	v_and_b32_e32 v33, 24, v33
	.loc	1 42 21                         ; indirect_matmul.py:42:21
	v_lshl_or_b32 v0, s11, 5, v0
	s_delay_alu instid0(VALU_DEP_2)
	.loc	1 26 35                         ; indirect_matmul.py:26:35
	v_or_b32_e32 v35, 1, v33
	v_or_b32_e32 v37, 2, v33
	;; [unrolled: 1-line block ×15, first 2 shown]
	.loc	1 42 48                         ; indirect_matmul.py:42:48
	s_wait_kmcnt 0x0
	v_mul_lo_u32 v33, v33, s0
	v_mul_lo_u32 v35, v35, s0
	;; [unrolled: 1-line block ×8, first 2 shown]
	.loc	1 42 39 is_stmt 0               ; indirect_matmul.py:42:39
	v_ashrrev_i32_e32 v34, 31, v33
	v_ashrrev_i32_e32 v36, 31, v35
	.loc	1 42 48                         ; indirect_matmul.py:42:48
	v_mul_lo_u32 v45, v45, s0
	v_mul_lo_u32 v63, v38, s0
	.loc	1 42 39                         ; indirect_matmul.py:42:39
	v_ashrrev_i32_e32 v38, 31, v37
	v_lshlrev_b64_e32 v[33:34], 2, v[33:34]
	.loc	1 42 21                         ; indirect_matmul.py:42:21
	v_add_co_u32 v0, s1, s2, v0
	.loc	1 42 48                         ; indirect_matmul.py:42:48
	v_mul_lo_u32 v47, v47, s0
	v_mul_lo_u32 v61, v40, s0
	.loc	1 42 39                         ; indirect_matmul.py:42:39
	v_ashrrev_i32_e32 v40, 31, v39
	v_lshlrev_b64_e32 v[35:36], 2, v[35:36]
	.loc	1 42 21                         ; indirect_matmul.py:42:21
	s_wait_alu depctr_va_sdst(0)
	v_add_co_ci_u32_e64 v65, null, s3, 0, s1
	.loc	1 42 48                         ; indirect_matmul.py:42:48
	v_mul_lo_u32 v49, v48, s0
	v_mul_lo_u32 v59, v42, s0
	.loc	1 42 39                         ; indirect_matmul.py:42:39
	v_ashrrev_i32_e32 v42, 31, v41
	v_lshlrev_b64_e32 v[37:38], 2, v[37:38]
	.loc	1 42 48                         ; indirect_matmul.py:42:48
	v_mul_lo_u32 v51, v46, s0
	v_mul_lo_u32 v55, v44, s0
	.loc	1 42 39                         ; indirect_matmul.py:42:39
	v_ashrrev_i32_e32 v44, 31, v43
	v_add_co_u32 v33, vcc_lo, v0, v33
	v_lshlrev_b64_e32 v[39:40], 2, v[39:40]
	v_ashrrev_i32_e32 v46, 31, v45
	s_wait_alu depctr_va_vcc(0)
	v_add_co_ci_u32_e64 v34, null, v65, v34, vcc_lo
	v_add_co_u32 v35, vcc_lo, v0, v35
	v_lshlrev_b64_e32 v[41:42], 2, v[41:42]
	v_ashrrev_i32_e32 v48, 31, v47
	s_wait_alu depctr_va_vcc(0)
	v_add_co_ci_u32_e64 v36, null, v65, v36, vcc_lo
	v_add_co_u32 v37, vcc_lo, v0, v37
	v_lshlrev_b64_e32 v[43:44], 2, v[43:44]
	v_ashrrev_i32_e32 v50, 31, v49
	s_wait_alu depctr_va_vcc(0)
	v_add_co_ci_u32_e64 v38, null, v65, v38, vcc_lo
	v_add_co_u32 v39, vcc_lo, v0, v39
	v_lshlrev_b64_e32 v[45:46], 2, v[45:46]
	v_ashrrev_i32_e32 v52, 31, v51
	s_wait_alu depctr_va_vcc(0)
	v_add_co_ci_u32_e64 v40, null, v65, v40, vcc_lo
	v_add_co_u32 v41, vcc_lo, v0, v41
	v_lshlrev_b64_e32 v[47:48], 2, v[47:48]
	v_ashrrev_i32_e32 v54, 31, v53
	s_wait_alu depctr_va_vcc(0)
	v_add_co_ci_u32_e64 v42, null, v65, v42, vcc_lo
	v_add_co_u32 v43, vcc_lo, v0, v43
	v_lshlrev_b64_e32 v[49:50], 2, v[49:50]
	v_ashrrev_i32_e32 v56, 31, v55
	s_wait_alu depctr_va_vcc(0)
	v_add_co_ci_u32_e64 v44, null, v65, v44, vcc_lo
	v_add_co_u32 v45, vcc_lo, v0, v45
	v_lshlrev_b64_e32 v[51:52], 2, v[51:52]
	v_ashrrev_i32_e32 v58, 31, v57
	s_wait_alu depctr_va_vcc(0)
	v_add_co_ci_u32_e64 v46, null, v65, v46, vcc_lo
	v_add_co_u32 v47, vcc_lo, v0, v47
	v_lshlrev_b64_e32 v[53:54], 2, v[53:54]
	v_ashrrev_i32_e32 v60, 31, v59
	s_wait_alu depctr_va_vcc(0)
	v_add_co_ci_u32_e64 v48, null, v65, v48, vcc_lo
	v_add_co_u32 v49, vcc_lo, v0, v49
	v_lshlrev_b64_e32 v[55:56], 2, v[55:56]
	v_ashrrev_i32_e32 v62, 31, v61
	s_wait_alu depctr_va_vcc(0)
	v_add_co_ci_u32_e64 v50, null, v65, v50, vcc_lo
	v_add_co_u32 v51, vcc_lo, v0, v51
	v_lshlrev_b64_e32 v[57:58], 2, v[57:58]
	v_ashrrev_i32_e32 v64, 31, v63
	s_wait_alu depctr_va_vcc(0)
	v_add_co_ci_u32_e64 v52, null, v65, v52, vcc_lo
	v_add_co_u32 v53, vcc_lo, v0, v53
	v_lshlrev_b64_e32 v[59:60], 2, v[59:60]
	s_wait_alu depctr_va_vcc(0)
	v_add_co_ci_u32_e64 v54, null, v65, v54, vcc_lo
	v_add_co_u32 v55, vcc_lo, v0, v55
	v_lshlrev_b64_e32 v[61:62], 2, v[61:62]
	s_wait_alu depctr_va_vcc(0)
	v_add_co_ci_u32_e64 v56, null, v65, v56, vcc_lo
	;; [unrolled: 4-line block ×3, first 2 shown]
	v_add_co_u32 v59, vcc_lo, v0, v59
	s_wait_alu depctr_va_vcc(0)
	v_add_co_ci_u32_e64 v60, null, v65, v60, vcc_lo
	v_add_co_u32 v61, vcc_lo, v0, v61
	s_wait_alu depctr_va_vcc(0)
	v_add_co_ci_u32_e64 v62, null, v65, v62, vcc_lo
	;; [unrolled: 3-line block ×3, first 2 shown]
	.loc	1 43 23 is_stmt 1               ; indirect_matmul.py:43:23
	s_clause 0x1f
	global_store_b32 v[33:34], v25, off
	global_store_b32 v[35:36], v26, off
	;; [unrolled: 1-line block ×16, first 2 shown]
	global_store_b32 v[33:34], v9, off offset:128
	global_store_b32 v[35:36], v10, off offset:128
	;; [unrolled: 1-line block ×16, first 2 shown]
	.loc	1 43 4 is_stmt 0                ; indirect_matmul.py:43:4
	s_nop 0
	s_sendmsg sendmsg(MSG_DEALLOC_VGPRS)
	s_endpgm
.Ltmp1:
	.section	.rodata,"a",@progbits
	.p2align	6, 0x0
	.amdhsa_kernel indirect_matmul_kernel
		.amdhsa_group_segment_fixed_size 0
		.amdhsa_private_segment_fixed_size 0
		.amdhsa_kernarg_size 80
		.amdhsa_user_sgpr_count 2
		.amdhsa_user_sgpr_dispatch_ptr 0
		.amdhsa_user_sgpr_queue_ptr 0
		.amdhsa_user_sgpr_kernarg_segment_ptr 1
		.amdhsa_user_sgpr_dispatch_id 0
		.amdhsa_user_sgpr_private_segment_size 0
		.amdhsa_wavefront_size32 1
		.amdhsa_uses_dynamic_stack 0
		.amdhsa_enable_private_segment 0
		.amdhsa_system_sgpr_workgroup_id_x 1
		.amdhsa_system_sgpr_workgroup_id_y 1
		.amdhsa_system_sgpr_workgroup_id_z 1
		.amdhsa_system_sgpr_workgroup_info 0
		.amdhsa_system_vgpr_workitem_id 0
		.amdhsa_next_free_vgpr 111
		.amdhsa_next_free_sgpr 32
		.amdhsa_reserve_vcc 1
		.amdhsa_float_round_mode_32 0
		.amdhsa_float_round_mode_16_64 0
		.amdhsa_float_denorm_mode_32 3
		.amdhsa_float_denorm_mode_16_64 3
		.amdhsa_fp16_overflow 0
		.amdhsa_workgroup_processor_mode 1
		.amdhsa_memory_ordered 1
		.amdhsa_forward_progress 1
		.amdhsa_inst_pref_size 69
		.amdhsa_round_robin_scheduling 0
		.amdhsa_exception_fp_ieee_invalid_op 0
		.amdhsa_exception_fp_denorm_src 0
		.amdhsa_exception_fp_ieee_div_zero 0
		.amdhsa_exception_fp_ieee_overflow 0
		.amdhsa_exception_fp_ieee_underflow 0
		.amdhsa_exception_fp_ieee_inexact 0
		.amdhsa_exception_int_div_zero 0
	.end_amdhsa_kernel
	.text
.Lfunc_end0:
	.size	indirect_matmul_kernel, .Lfunc_end0-indirect_matmul_kernel
	.cfi_endproc
                                        ; -- End function
	.set indirect_matmul_kernel.num_vgpr, 111
	.set indirect_matmul_kernel.num_agpr, 0
	.set indirect_matmul_kernel.numbered_sgpr, 32
	.set indirect_matmul_kernel.num_named_barrier, 0
	.set indirect_matmul_kernel.private_seg_size, 0
	.set indirect_matmul_kernel.uses_vcc, 1
	.set indirect_matmul_kernel.uses_flat_scratch, 0
	.set indirect_matmul_kernel.has_dyn_sized_stack, 0
	.set indirect_matmul_kernel.has_recursion, 0
	.set indirect_matmul_kernel.has_indirect_call, 0
	.section	.AMDGPU.csdata,"",@progbits
; Kernel info:
; codeLenInByte = 8736
; TotalNumSgprs: 34
; NumVgprs: 111
; ScratchSize: 0
; MemoryBound: 0
; FloatMode: 240
; IeeeMode: 1
; LDSByteSize: 0 bytes/workgroup (compile time only)
; SGPRBlocks: 0
; VGPRBlocks: 13
; NumSGPRsForWavesPerEU: 34
; NumVGPRsForWavesPerEU: 111
; Occupancy: 12
; WaveLimiterHint : 1
; COMPUTE_PGM_RSRC2:SCRATCH_EN: 0
; COMPUTE_PGM_RSRC2:USER_SGPR: 2
; COMPUTE_PGM_RSRC2:TRAP_HANDLER: 0
; COMPUTE_PGM_RSRC2:TGID_X_EN: 1
; COMPUTE_PGM_RSRC2:TGID_Y_EN: 1
; COMPUTE_PGM_RSRC2:TGID_Z_EN: 1
; COMPUTE_PGM_RSRC2:TIDIG_COMP_CNT: 0
	.text
	.p2alignl 7, 3214868480
	.fill 96, 4, 3214868480
	.section	.AMDGPU.gpr_maximums,"",@progbits
	.set amdgpu.max_num_vgpr, 0
	.set amdgpu.max_num_agpr, 0
	.set amdgpu.max_num_sgpr, 0
	.set amdgpu.max_num_named_barrier, 0
	.text
	.section	.debug_abbrev,"",@progbits
	.byte	1                               ; Abbreviation Code
	.byte	17                              ; DW_TAG_compile_unit
	.byte	0                               ; DW_CHILDREN_no
	.byte	37                              ; DW_AT_producer
	.byte	14                              ; DW_FORM_strp
	.byte	19                              ; DW_AT_language
	.byte	5                               ; DW_FORM_data2
	.byte	3                               ; DW_AT_name
	.byte	14                              ; DW_FORM_strp
	.byte	16                              ; DW_AT_stmt_list
	.byte	23                              ; DW_FORM_sec_offset
	.byte	27                              ; DW_AT_comp_dir
	.byte	14                              ; DW_FORM_strp
	.byte	17                              ; DW_AT_low_pc
	.byte	1                               ; DW_FORM_addr
	.byte	18                              ; DW_AT_high_pc
	.byte	6                               ; DW_FORM_data4
	.byte	0                               ; EOM(1)
	.byte	0                               ; EOM(2)
	;; [unrolled: 1-line block ×3, first 2 shown]
	.section	.debug_info,"",@progbits
.Lcu_begin0:
	.long	.Ldebug_info_end0-.Ldebug_info_start0 ; Length of Unit
.Ldebug_info_start0:
	.short	4                               ; DWARF version number
	.long	.debug_abbrev                   ; Offset Into Abbrev. Section
	.byte	8                               ; Address Size (in bytes)
	.byte	1                               ; Abbrev [1] 0xb:0x1f DW_TAG_compile_unit
	.long	.Linfo_string0                  ; DW_AT_producer
	.short	2                               ; DW_AT_language
	.long	.Linfo_string1                  ; DW_AT_name
	.long	.Lline_table_start0             ; DW_AT_stmt_list
	.long	.Linfo_string2                  ; DW_AT_comp_dir
	.quad	.Lfunc_begin0                   ; DW_AT_low_pc
	.long	.Lfunc_end0-.Lfunc_begin0       ; DW_AT_high_pc
.Ldebug_info_end0:
	.section	.debug_str,"MS",@progbits,1
.Linfo_string0:
	.asciz	"triton"                        ; string offset=0
.Linfo_string1:
	.asciz	"indirect_matmul.py"            ; string offset=7
.Linfo_string2:
	.asciz	"/root/src/amdgpu-assembly/repos/triton-lang__triton-aot" ; string offset=26
	.section	".note.GNU-stack","",@progbits
	.amdgpu_metadata
---
amdhsa.kernels:
  - .args:
      - .address_space:  global
        .offset:         0
        .size:           8
        .value_kind:     global_buffer
      - .offset:         8
        .size:           4
        .value_kind:     by_value
      - .address_space:  global
        .offset:         16
        .size:           8
        .value_kind:     global_buffer
      - .offset:         24
        .size:           4
        .value_kind:     by_value
      - .address_space:  global
        .offset:         32
        .size:           8
        .value_kind:     global_buffer
      - .offset:         40
        .size:           4
        .value_kind:     by_value
      - .address_space:  global
        .offset:         48
        .size:           8
        .value_kind:     global_buffer
      - .offset:         56
        .size:           4
        .value_kind:     by_value
      - .address_space:  global
        .offset:         64
        .size:           8
        .value_kind:     global_buffer
      - .address_space:  global
        .offset:         72
        .size:           8
        .value_kind:     global_buffer
    .group_segment_fixed_size: 0
    .kernarg_segment_align: 8
    .kernarg_segment_size: 80
    .max_flat_workgroup_size: 128
    .name:           indirect_matmul_kernel
    .private_segment_fixed_size: 0
    .sgpr_count:     34
    .sgpr_spill_count: 0
    .symbol:         indirect_matmul_kernel.kd
    .uniform_work_group_size: 1
    .uses_dynamic_stack: false
    .vgpr_count:     111
    .vgpr_spill_count: 0
    .wavefront_size: 32
    .workgroup_processor_mode: 1
amdhsa.target:   amdgcn-amd-amdhsa--gfx1201
amdhsa.version:
  - 1
  - 2
...

	.end_amdgpu_metadata
	.section	.debug_line,"",@progbits
.Lline_table_start0:
